;; amdgpu-corpus repo=zjin-lcf/HeCBench kind=compiled arch=gfx1030 opt=O3
	.amdgcn_target "amdgcn-amd-amdhsa--gfx1030"
	.amdhsa_code_object_version 6
	.text
	.protected	_Z9compute_fiPKfS0_Pf   ; -- Begin function _Z9compute_fiPKfS0_Pf
	.globl	_Z9compute_fiPKfS0_Pf
	.p2align	8
	.type	_Z9compute_fiPKfS0_Pf,@function
_Z9compute_fiPKfS0_Pf:                  ; @_Z9compute_fiPKfS0_Pf
; %bb.0:
	s_clause 0x1
	s_load_dword s0, s[4:5], 0x2c
	s_load_dword s1, s[4:5], 0x0
	s_waitcnt lgkmcnt(0)
	s_and_b32 s0, s0, 0xffff
	v_mad_u64_u32 v[0:1], null, s6, s0, v[0:1]
	s_mov_b32 s0, exec_lo
	v_cmpx_gt_i32_e64 s1, v0
	s_cbranch_execz .LBB0_2
; %bb.1:
	s_clause 0x1
	s_load_dwordx4 s[8:11], s[4:5], 0x8
	s_load_dwordx2 s[2:3], s[4:5], 0x18
	v_ashrrev_i32_e32 v1, 31, v0
	s_mov_b32 s1, 0xbda27c92
	s_mov_b32 s4, 0x3d1fb050
	;; [unrolled: 1-line block ×4, first 2 shown]
	v_lshlrev_b64 v[0:1], 2, v[0:1]
	s_mov_b32 s7, 0xbbdf05e2
	s_waitcnt lgkmcnt(0)
	v_add_co_u32 v2, vcc_lo, s10, v0
	v_add_co_ci_u32_e64 v3, null, s11, v1, vcc_lo
	v_add_co_u32 v4, vcc_lo, s8, v0
	v_add_co_ci_u32_e64 v5, null, s9, v1, vcc_lo
	global_load_dword v2, v[2:3], off
	global_load_dword v3, v[4:5], off
	s_mov_b32 s8, 0x3b843aee
	s_waitcnt vmcnt(1)
	v_cmp_eq_f32_e32 vcc_lo, 0, v2
	s_waitcnt vmcnt(0)
	v_cmp_eq_f32_e64 s0, 0, v3
	s_and_b32 s0, vcc_lo, s0
	v_cndmask_b32_e64 v3, v3, 0x3e4ccccd, s0
	s_mov_b32 s0, 0x3e448e00
	v_sub_f32_e64 v4, |v3|, |v2|
	v_add_f32_e64 v5, |v2|, |v3|
	v_div_scale_f32 v6, null, v5, v5, v4
	v_div_scale_f32 v9, vcc_lo, v4, v5, v4
	v_rcp_f32_e32 v7, v6
	v_fma_f32 v8, -v6, v7, 1.0
	v_fmac_f32_e32 v7, v8, v7
	v_mul_f32_e32 v8, v9, v7
	v_fma_f32 v10, -v6, v8, v9
	v_fmac_f32_e32 v8, v10, v7
	v_fma_f32 v6, -v6, v8, v9
	v_div_fmas_f32 v6, v6, v7, v8
	v_cmp_gt_f32_e32 vcc_lo, 0, v3
	v_div_fixup_f32 v4, v6, v5, v4
	v_mov_b32_e32 v5, 0x3f490fdb
	v_cndmask_b32_e64 v4, v4, -v4, vcc_lo
	v_cmp_le_f32_e32 vcc_lo, 0, v3
	v_mul_f32_e32 v6, v4, v4
	v_cndmask_b32_e32 v3, 0x4016cbe4, v5, vcc_lo
	v_cmp_gt_f32_e32 vcc_lo, 0, v2
	v_fmaak_f32 v5, s0, v6, 0xbf78eed2
	v_fmaak_f32 v7, s1, v6, 0x3e93cf3a
	;; [unrolled: 1-line block ×7, first 2 shown]
	v_fma_f32 v5, v4, v5, v3
	v_fmaak_f32 v7, v6, v7, 0xbf7ecfc8
	v_fmaak_f32 v8, v6, v8, 0x3ea4710c
	;; [unrolled: 1-line block ×6, first 2 shown]
	v_cndmask_b32_e64 v2, v5, -v5, vcc_lo
	v_fma_f32 v5, v4, v7, v3
	v_fmaak_f32 v7, v6, v8, 0xbf7fcc7a
	v_fmaak_f32 v8, v6, v9, 0x3ea91dc2
	;; [unrolled: 1-line block ×5, first 2 shown]
	v_cndmask_b32_e64 v5, v5, -v5, vcc_lo
	v_fma_f32 v7, v4, v7, v3
	v_fmaak_f32 v8, v6, v8, 0xbf7ff73e
	v_fmaak_f32 v9, v6, v9, 0x3eaa4d90
	;; [unrolled: 1-line block ×4, first 2 shown]
	v_add_f32_e32 v2, v2, v5
	v_cndmask_b32_e64 v5, v7, -v7, vcc_lo
	v_fma_f32 v7, v4, v8, v3
	v_fmaak_f32 v8, v6, v9, 0xbf7ffe82
	v_fmaak_f32 v9, v6, v10, 0x3eaa95a0
	;; [unrolled: 1-line block ×3, first 2 shown]
	v_add_f32_e32 v2, v2, v5
	v_cndmask_b32_e64 v5, v7, -v7, vcc_lo
	v_fma_f32 v7, v4, v8, v3
	v_fmaak_f32 v8, v6, v9, 0xbf7fffbe
	v_fmaak_f32 v9, v6, v10, 0x3eaaa5f2
	v_add_f32_e32 v2, v2, v5
	v_cndmask_b32_e64 v5, v7, -v7, vcc_lo
	v_fma_f32 v7, v4, v8, v3
	v_fmaak_f32 v6, v6, v9, 0xbf7ffff4
	v_add_f32_e32 v2, v2, v5
	v_cndmask_b32_e64 v5, v7, -v7, vcc_lo
	v_fmac_f32_e32 v3, v4, v6
	v_add_f32_e32 v2, v2, v5
	v_cndmask_b32_e64 v3, v3, -v3, vcc_lo
	v_add_co_u32 v0, vcc_lo, s2, v0
	v_add_co_ci_u32_e64 v1, null, s3, v1, vcc_lo
	v_add_f32_e32 v2, v2, v3
	global_store_dword v[0:1], v2, off
.LBB0_2:
	s_endpgm
	.section	.rodata,"a",@progbits
	.p2align	6, 0x0
	.amdhsa_kernel _Z9compute_fiPKfS0_Pf
		.amdhsa_group_segment_fixed_size 0
		.amdhsa_private_segment_fixed_size 0
		.amdhsa_kernarg_size 288
		.amdhsa_user_sgpr_count 6
		.amdhsa_user_sgpr_private_segment_buffer 1
		.amdhsa_user_sgpr_dispatch_ptr 0
		.amdhsa_user_sgpr_queue_ptr 0
		.amdhsa_user_sgpr_kernarg_segment_ptr 1
		.amdhsa_user_sgpr_dispatch_id 0
		.amdhsa_user_sgpr_flat_scratch_init 0
		.amdhsa_user_sgpr_private_segment_size 0
		.amdhsa_wavefront_size32 1
		.amdhsa_uses_dynamic_stack 0
		.amdhsa_system_sgpr_private_segment_wavefront_offset 0
		.amdhsa_system_sgpr_workgroup_id_x 1
		.amdhsa_system_sgpr_workgroup_id_y 0
		.amdhsa_system_sgpr_workgroup_id_z 0
		.amdhsa_system_sgpr_workgroup_info 0
		.amdhsa_system_vgpr_workitem_id 0
		.amdhsa_next_free_vgpr 13
		.amdhsa_next_free_sgpr 12
		.amdhsa_reserve_vcc 1
		.amdhsa_reserve_flat_scratch 0
		.amdhsa_float_round_mode_32 0
		.amdhsa_float_round_mode_16_64 0
		.amdhsa_float_denorm_mode_32 3
		.amdhsa_float_denorm_mode_16_64 3
		.amdhsa_dx10_clamp 1
		.amdhsa_ieee_mode 1
		.amdhsa_fp16_overflow 0
		.amdhsa_workgroup_processor_mode 1
		.amdhsa_memory_ordered 1
		.amdhsa_forward_progress 1
		.amdhsa_shared_vgpr_count 0
		.amdhsa_exception_fp_ieee_invalid_op 0
		.amdhsa_exception_fp_denorm_src 0
		.amdhsa_exception_fp_ieee_div_zero 0
		.amdhsa_exception_fp_ieee_overflow 0
		.amdhsa_exception_fp_ieee_underflow 0
		.amdhsa_exception_fp_ieee_inexact 0
		.amdhsa_exception_int_div_zero 0
	.end_amdhsa_kernel
	.text
.Lfunc_end0:
	.size	_Z9compute_fiPKfS0_Pf, .Lfunc_end0-_Z9compute_fiPKfS0_Pf
                                        ; -- End function
	.set _Z9compute_fiPKfS0_Pf.num_vgpr, 13
	.set _Z9compute_fiPKfS0_Pf.num_agpr, 0
	.set _Z9compute_fiPKfS0_Pf.numbered_sgpr, 12
	.set _Z9compute_fiPKfS0_Pf.num_named_barrier, 0
	.set _Z9compute_fiPKfS0_Pf.private_seg_size, 0
	.set _Z9compute_fiPKfS0_Pf.uses_vcc, 1
	.set _Z9compute_fiPKfS0_Pf.uses_flat_scratch, 0
	.set _Z9compute_fiPKfS0_Pf.has_dyn_sized_stack, 0
	.set _Z9compute_fiPKfS0_Pf.has_recursion, 0
	.set _Z9compute_fiPKfS0_Pf.has_indirect_call, 0
	.section	.AMDGPU.csdata,"",@progbits
; Kernel info:
; codeLenInByte = 744
; TotalNumSgprs: 14
; NumVgprs: 13
; ScratchSize: 0
; MemoryBound: 0
; FloatMode: 240
; IeeeMode: 1
; LDSByteSize: 0 bytes/workgroup (compile time only)
; SGPRBlocks: 0
; VGPRBlocks: 1
; NumSGPRsForWavesPerEU: 14
; NumVGPRsForWavesPerEU: 13
; Occupancy: 16
; WaveLimiterHint : 0
; COMPUTE_PGM_RSRC2:SCRATCH_EN: 0
; COMPUTE_PGM_RSRC2:USER_SGPR: 6
; COMPUTE_PGM_RSRC2:TRAP_HANDLER: 0
; COMPUTE_PGM_RSRC2:TGID_X_EN: 1
; COMPUTE_PGM_RSRC2:TGID_Y_EN: 0
; COMPUTE_PGM_RSRC2:TGID_Z_EN: 0
; COMPUTE_PGM_RSRC2:TIDIG_COMP_CNT: 0
	.text
	.protected	_Z9compute_siPKfS0_Ps   ; -- Begin function _Z9compute_siPKfS0_Ps
	.globl	_Z9compute_siPKfS0_Ps
	.p2align	8
	.type	_Z9compute_siPKfS0_Ps,@function
_Z9compute_siPKfS0_Ps:                  ; @_Z9compute_siPKfS0_Ps
; %bb.0:
	s_clause 0x1
	s_load_dword s0, s[4:5], 0x2c
	s_load_dword s1, s[4:5], 0x0
	s_waitcnt lgkmcnt(0)
	s_and_b32 s0, s0, 0xffff
	v_mad_u64_u32 v[0:1], null, s6, s0, v[0:1]
	s_mov_b32 s0, exec_lo
	v_cmpx_gt_i32_e64 s1, v0
	s_cbranch_execz .LBB1_2
; %bb.1:
	s_clause 0x1
	s_load_dwordx4 s[8:11], s[4:5], 0x8
	s_load_dwordx2 s[0:1], s[4:5], 0x18
	v_ashrrev_i32_e32 v1, 31, v0
	s_mov_b32 s3, 0xc44ee274
	s_mov_b32 s4, 0x43cb522a
	;; [unrolled: 1-line block ×4, first 2 shown]
	v_lshlrev_b64 v[2:3], 2, v[0:1]
	v_lshlrev_b64 v[0:1], 1, v[0:1]
	s_waitcnt lgkmcnt(0)
	v_add_co_u32 v4, vcc_lo, s10, v2
	v_add_co_ci_u32_e64 v5, null, s11, v3, vcc_lo
	v_add_co_u32 v2, vcc_lo, s8, v2
	v_add_co_ci_u32_e64 v3, null, s9, v3, vcc_lo
	global_load_dword v4, v[4:5], off
	global_load_dword v2, v[2:3], off
	s_waitcnt vmcnt(0)
	v_sub_f32_e64 v3, |v2|, |v4|
	v_add_f32_e64 v5, |v4|, |v2|
	v_div_scale_f32 v6, null, v5, v5, v3
	v_div_scale_f32 v9, vcc_lo, v3, v5, v3
	v_rcp_f32_e32 v7, v6
	v_fma_f32 v8, -v6, v7, 1.0
	v_fmac_f32_e32 v7, v8, v7
	v_mul_f32_e32 v8, v9, v7
	v_fma_f32 v10, -v6, v8, v9
	v_fmac_f32_e32 v8, v10, v7
	v_mov_b32_e32 v10, 0x2000
	v_fma_f32 v6, -v6, v8, v9
	v_div_fmas_f32 v6, v6, v7, v8
	v_cmp_gt_f32_e32 vcc_lo, 0, v2
	v_div_fixup_f32 v3, v6, v5, v3
	v_cndmask_b32_e64 v3, v3, -v3, vcc_lo
	v_cmp_le_f32_e32 vcc_lo, 0, v2
	v_mul_f32_e32 v5, v3, v3
	v_cndmask_b32_e32 v2, 0x6000, v10, vcc_lo
	v_cmp_gt_f32_e32 vcc_lo, 0, v4
	v_fmaak_f32 v7, s3, v5, 0x453c326c
	v_fmaak_f32 v8, s4, v5, 0xc4beb2de
	;; [unrolled: 1-line block ×7, first 2 shown]
	v_mul_f32_e32 v6, v3, v6
	v_mul_f32_e32 v7, v3, v7
	v_fmaak_f32 v8, v5, v8, 0xc622d8b6
	v_fmaak_f32 v9, v5, v9, 0x4557534e
	v_cvt_i32_f32_e32 v6, v6
	v_cvt_i32_f32_e32 v7, v7
	v_mul_f32_e32 v8, v3, v8
	v_fmaak_f32 v5, v5, v9, 0xc622f3f0
	v_add_nc_u16 v6, v2, v6
	v_add_nc_u16 v7, v2, v7
	v_cvt_i32_f32_e32 v8, v8
	v_mul_f32_e32 v3, v3, v5
	v_sub_nc_u16 v5, 0, v6
	v_sub_nc_u16 v4, 0, v7
	v_add_nc_u16 v8, v2, v8
	v_cvt_i32_f32_e32 v3, v3
	v_cndmask_b32_e32 v5, v6, v5, vcc_lo
	v_cndmask_b32_e32 v4, v7, v4, vcc_lo
	v_sub_nc_u16 v6, 0, v8
	v_add_nc_u16 v2, v2, v3
	v_add_nc_u16 v3, v4, v5
	v_cndmask_b32_e32 v4, v8, v6, vcc_lo
	v_sub_nc_u16 v5, 0, v2
	v_add_nc_u16 v3, v3, v4
	v_cndmask_b32_e32 v2, v2, v5, vcc_lo
	v_add_co_u32 v0, vcc_lo, s0, v0
	v_add_co_ci_u32_e64 v1, null, s1, v1, vcc_lo
	v_add_nc_u16 v2, v3, v2
	global_store_short v[0:1], v2, off
.LBB1_2:
	s_endpgm
	.section	.rodata,"a",@progbits
	.p2align	6, 0x0
	.amdhsa_kernel _Z9compute_siPKfS0_Ps
		.amdhsa_group_segment_fixed_size 0
		.amdhsa_private_segment_fixed_size 0
		.amdhsa_kernarg_size 288
		.amdhsa_user_sgpr_count 6
		.amdhsa_user_sgpr_private_segment_buffer 1
		.amdhsa_user_sgpr_dispatch_ptr 0
		.amdhsa_user_sgpr_queue_ptr 0
		.amdhsa_user_sgpr_kernarg_segment_ptr 1
		.amdhsa_user_sgpr_dispatch_id 0
		.amdhsa_user_sgpr_flat_scratch_init 0
		.amdhsa_user_sgpr_private_segment_size 0
		.amdhsa_wavefront_size32 1
		.amdhsa_uses_dynamic_stack 0
		.amdhsa_system_sgpr_private_segment_wavefront_offset 0
		.amdhsa_system_sgpr_workgroup_id_x 1
		.amdhsa_system_sgpr_workgroup_id_y 0
		.amdhsa_system_sgpr_workgroup_id_z 0
		.amdhsa_system_sgpr_workgroup_info 0
		.amdhsa_system_vgpr_workitem_id 0
		.amdhsa_next_free_vgpr 11
		.amdhsa_next_free_sgpr 12
		.amdhsa_reserve_vcc 1
		.amdhsa_reserve_flat_scratch 0
		.amdhsa_float_round_mode_32 0
		.amdhsa_float_round_mode_16_64 0
		.amdhsa_float_denorm_mode_32 3
		.amdhsa_float_denorm_mode_16_64 3
		.amdhsa_dx10_clamp 1
		.amdhsa_ieee_mode 1
		.amdhsa_fp16_overflow 0
		.amdhsa_workgroup_processor_mode 1
		.amdhsa_memory_ordered 1
		.amdhsa_forward_progress 1
		.amdhsa_shared_vgpr_count 0
		.amdhsa_exception_fp_ieee_invalid_op 0
		.amdhsa_exception_fp_denorm_src 0
		.amdhsa_exception_fp_ieee_div_zero 0
		.amdhsa_exception_fp_ieee_overflow 0
		.amdhsa_exception_fp_ieee_underflow 0
		.amdhsa_exception_fp_ieee_inexact 0
		.amdhsa_exception_int_div_zero 0
	.end_amdhsa_kernel
	.text
.Lfunc_end1:
	.size	_Z9compute_siPKfS0_Ps, .Lfunc_end1-_Z9compute_siPKfS0_Ps
                                        ; -- End function
	.set _Z9compute_siPKfS0_Ps.num_vgpr, 11
	.set _Z9compute_siPKfS0_Ps.num_agpr, 0
	.set _Z9compute_siPKfS0_Ps.numbered_sgpr, 12
	.set _Z9compute_siPKfS0_Ps.num_named_barrier, 0
	.set _Z9compute_siPKfS0_Ps.private_seg_size, 0
	.set _Z9compute_siPKfS0_Ps.uses_vcc, 1
	.set _Z9compute_siPKfS0_Ps.uses_flat_scratch, 0
	.set _Z9compute_siPKfS0_Ps.has_dyn_sized_stack, 0
	.set _Z9compute_siPKfS0_Ps.has_recursion, 0
	.set _Z9compute_siPKfS0_Ps.has_indirect_call, 0
	.section	.AMDGPU.csdata,"",@progbits
; Kernel info:
; codeLenInByte = 556
; TotalNumSgprs: 14
; NumVgprs: 11
; ScratchSize: 0
; MemoryBound: 0
; FloatMode: 240
; IeeeMode: 1
; LDSByteSize: 0 bytes/workgroup (compile time only)
; SGPRBlocks: 0
; VGPRBlocks: 1
; NumSGPRsForWavesPerEU: 14
; NumVGPRsForWavesPerEU: 11
; Occupancy: 16
; WaveLimiterHint : 0
; COMPUTE_PGM_RSRC2:SCRATCH_EN: 0
; COMPUTE_PGM_RSRC2:USER_SGPR: 6
; COMPUTE_PGM_RSRC2:TRAP_HANDLER: 0
; COMPUTE_PGM_RSRC2:TGID_X_EN: 1
; COMPUTE_PGM_RSRC2:TGID_Y_EN: 0
; COMPUTE_PGM_RSRC2:TGID_Z_EN: 0
; COMPUTE_PGM_RSRC2:TIDIG_COMP_CNT: 0
	.text
	.protected	_Z9compute_iiPKfS0_Pi   ; -- Begin function _Z9compute_iiPKfS0_Pi
	.globl	_Z9compute_iiPKfS0_Pi
	.p2align	8
	.type	_Z9compute_iiPKfS0_Pi,@function
_Z9compute_iiPKfS0_Pi:                  ; @_Z9compute_iiPKfS0_Pi
; %bb.0:
	s_clause 0x1
	s_load_dword s0, s[4:5], 0x2c
	s_load_dword s1, s[4:5], 0x0
	s_waitcnt lgkmcnt(0)
	s_and_b32 s0, s0, 0xffff
	v_mad_u64_u32 v[0:1], null, s6, s0, v[0:1]
	s_mov_b32 s0, exec_lo
	v_cmpx_gt_i32_e64 s1, v0
	s_cbranch_execz .LBB2_2
; %bb.1:
	s_clause 0x1
	s_load_dwordx4 s[8:11], s[4:5], 0x8
	s_load_dwordx2 s[0:1], s[4:5], 0x18
	v_ashrrev_i32_e32 v1, 31, v0
	s_mov_b32 s7, 0xca8e1f32
	s_mov_b32 s2, 0x4cfa42e8
	;; [unrolled: 1-line block ×4, first 2 shown]
	v_lshlrev_b64 v[0:1], 2, v[0:1]
	s_mov_b32 s3, 0xcc4ee22a
	s_mov_b32 s4, 0x4bcb522a
	s_waitcnt lgkmcnt(0)
	v_add_co_u32 v2, vcc_lo, s10, v0
	v_add_co_ci_u32_e64 v3, null, s11, v1, vcc_lo
	v_add_co_u32 v4, vcc_lo, s8, v0
	v_add_co_ci_u32_e64 v5, null, s9, v1, vcc_lo
	global_load_dword v2, v[2:3], off
	global_load_dword v3, v[4:5], off
	s_waitcnt vmcnt(0)
	v_sub_f32_e64 v4, |v3|, |v2|
	v_add_f32_e64 v5, |v2|, |v3|
	v_div_scale_f32 v6, null, v5, v5, v4
	v_div_scale_f32 v9, vcc_lo, v4, v5, v4
	v_rcp_f32_e32 v7, v6
	v_fma_f32 v8, -v6, v7, 1.0
	v_fmac_f32_e32 v7, v8, v7
	v_mul_f32_e32 v8, v9, v7
	v_fma_f32 v10, -v6, v8, v9
	v_fmac_f32_e32 v8, v10, v7
	v_fma_f32 v6, -v6, v8, v9
	v_div_fmas_f32 v6, v6, v7, v8
	v_cmp_gt_f32_e32 vcc_lo, 0, v3
	v_div_fixup_f32 v4, v6, v5, v4
	v_bfrev_b32_e32 v5, 4
	v_cndmask_b32_e64 v4, v4, -v4, vcc_lo
	v_cmp_le_f32_e32 vcc_lo, 0, v3
	v_mul_f32_e32 v6, v4, v4
	v_cndmask_b32_e32 v3, 0x60000000, v5, vcc_lo
	v_cmp_gt_f32_e32 vcc_lo, 0, v2
	v_fmaak_f32 v7, s7, v6, 0x4baf45a4
	v_fmaak_f32 v5, s2, v6, 0xce1e79c2
	;; [unrolled: 1-line block ×7, first 2 shown]
	v_mul_f32_e32 v5, v4, v5
	v_fmaak_f32 v10, v6, v10, 0xcceae46a
	v_fmaak_f32 v11, v6, v11, 0x4c97cb72
	;; [unrolled: 1-line block ×5, first 2 shown]
	v_cvt_i32_f32_e32 v5, v5
	v_fmaak_f32 v10, v6, v10, 0x4d57534e
	v_fmaak_f32 v7, v6, v7, 0xcd0120ac
	v_fmaak_f32 v11, v6, v11, 0xccfc5626
	v_mul_f32_e32 v8, v4, v8
	v_fmaak_f32 v9, v6, v9, 0xce22d8b6
	v_add_nc_u32_e32 v5, v3, v5
	v_fmaak_f32 v7, v6, v7, 0x4d593212
	v_fmaak_f32 v10, v6, v10, 0xce22f3f0
	;; [unrolled: 1-line block ×3, first 2 shown]
	v_cvt_i32_f32_e32 v8, v8
	v_mul_f32_e32 v9, v4, v9
	v_fmaak_f32 v7, v6, v7, 0xce22f95a
	v_sub_nc_u32_e32 v12, 0, v5
	v_mul_f32_e32 v10, v4, v10
	v_fmaak_f32 v6, v6, v11, 0xce22f890
	v_add_nc_u32_e32 v8, v3, v8
	v_mul_f32_e32 v7, v4, v7
	v_cvt_i32_f32_e32 v9, v9
	v_cndmask_b32_e32 v2, v5, v12, vcc_lo
	v_cvt_i32_f32_e32 v5, v10
	v_mul_f32_e32 v4, v4, v6
	v_cvt_i32_f32_e32 v6, v7
	v_sub_nc_u32_e32 v7, 0, v8
	v_add_nc_u32_e32 v9, v3, v9
	v_add_nc_u32_e32 v5, v3, v5
	v_cvt_i32_f32_e32 v4, v4
	v_add_nc_u32_e32 v6, v3, v6
	v_cndmask_b32_e32 v7, v8, v7, vcc_lo
	v_sub_nc_u32_e32 v8, 0, v9
	v_sub_nc_u32_e32 v10, 0, v5
	v_add_nc_u32_e32 v3, v3, v4
	v_sub_nc_u32_e32 v4, 0, v6
	v_add_nc_u32_e32 v2, v7, v2
	v_cndmask_b32_e32 v7, v9, v8, vcc_lo
	v_cndmask_b32_e32 v5, v5, v10, vcc_lo
	v_sub_nc_u32_e32 v8, 0, v3
	v_cndmask_b32_e32 v4, v6, v4, vcc_lo
	v_add3_u32 v2, v2, v7, v5
	v_cndmask_b32_e32 v3, v3, v8, vcc_lo
	v_lshlrev_b32_e32 v4, 1, v4
	v_add_co_u32 v0, vcc_lo, s0, v0
	v_add_co_ci_u32_e64 v1, null, s1, v1, vcc_lo
	v_add3_u32 v2, v2, v3, v4
	global_store_dword v[0:1], v2, off
.LBB2_2:
	s_endpgm
	.section	.rodata,"a",@progbits
	.p2align	6, 0x0
	.amdhsa_kernel _Z9compute_iiPKfS0_Pi
		.amdhsa_group_segment_fixed_size 0
		.amdhsa_private_segment_fixed_size 0
		.amdhsa_kernarg_size 288
		.amdhsa_user_sgpr_count 6
		.amdhsa_user_sgpr_private_segment_buffer 1
		.amdhsa_user_sgpr_dispatch_ptr 0
		.amdhsa_user_sgpr_queue_ptr 0
		.amdhsa_user_sgpr_kernarg_segment_ptr 1
		.amdhsa_user_sgpr_dispatch_id 0
		.amdhsa_user_sgpr_flat_scratch_init 0
		.amdhsa_user_sgpr_private_segment_size 0
		.amdhsa_wavefront_size32 1
		.amdhsa_uses_dynamic_stack 0
		.amdhsa_system_sgpr_private_segment_wavefront_offset 0
		.amdhsa_system_sgpr_workgroup_id_x 1
		.amdhsa_system_sgpr_workgroup_id_y 0
		.amdhsa_system_sgpr_workgroup_id_z 0
		.amdhsa_system_sgpr_workgroup_info 0
		.amdhsa_system_vgpr_workitem_id 0
		.amdhsa_next_free_vgpr 13
		.amdhsa_next_free_sgpr 12
		.amdhsa_reserve_vcc 1
		.amdhsa_reserve_flat_scratch 0
		.amdhsa_float_round_mode_32 0
		.amdhsa_float_round_mode_16_64 0
		.amdhsa_float_denorm_mode_32 3
		.amdhsa_float_denorm_mode_16_64 3
		.amdhsa_dx10_clamp 1
		.amdhsa_ieee_mode 1
		.amdhsa_fp16_overflow 0
		.amdhsa_workgroup_processor_mode 1
		.amdhsa_memory_ordered 1
		.amdhsa_forward_progress 1
		.amdhsa_shared_vgpr_count 0
		.amdhsa_exception_fp_ieee_invalid_op 0
		.amdhsa_exception_fp_denorm_src 0
		.amdhsa_exception_fp_ieee_div_zero 0
		.amdhsa_exception_fp_ieee_overflow 0
		.amdhsa_exception_fp_ieee_underflow 0
		.amdhsa_exception_fp_ieee_inexact 0
		.amdhsa_exception_int_div_zero 0
	.end_amdhsa_kernel
	.text
.Lfunc_end2:
	.size	_Z9compute_iiPKfS0_Pi, .Lfunc_end2-_Z9compute_iiPKfS0_Pi
                                        ; -- End function
	.set _Z9compute_iiPKfS0_Pi.num_vgpr, 13
	.set _Z9compute_iiPKfS0_Pi.num_agpr, 0
	.set _Z9compute_iiPKfS0_Pi.numbered_sgpr, 12
	.set _Z9compute_iiPKfS0_Pi.num_named_barrier, 0
	.set _Z9compute_iiPKfS0_Pi.private_seg_size, 0
	.set _Z9compute_iiPKfS0_Pi.uses_vcc, 1
	.set _Z9compute_iiPKfS0_Pi.uses_flat_scratch, 0
	.set _Z9compute_iiPKfS0_Pi.has_dyn_sized_stack, 0
	.set _Z9compute_iiPKfS0_Pi.has_recursion, 0
	.set _Z9compute_iiPKfS0_Pi.has_indirect_call, 0
	.section	.AMDGPU.csdata,"",@progbits
; Kernel info:
; codeLenInByte = 656
; TotalNumSgprs: 14
; NumVgprs: 13
; ScratchSize: 0
; MemoryBound: 0
; FloatMode: 240
; IeeeMode: 1
; LDSByteSize: 0 bytes/workgroup (compile time only)
; SGPRBlocks: 0
; VGPRBlocks: 1
; NumSGPRsForWavesPerEU: 14
; NumVGPRsForWavesPerEU: 13
; Occupancy: 16
; WaveLimiterHint : 0
; COMPUTE_PGM_RSRC2:SCRATCH_EN: 0
; COMPUTE_PGM_RSRC2:USER_SGPR: 6
; COMPUTE_PGM_RSRC2:TRAP_HANDLER: 0
; COMPUTE_PGM_RSRC2:TGID_X_EN: 1
; COMPUTE_PGM_RSRC2:TGID_Y_EN: 0
; COMPUTE_PGM_RSRC2:TGID_Z_EN: 0
; COMPUTE_PGM_RSRC2:TIDIG_COMP_CNT: 0
	.text
	.p2alignl 6, 3214868480
	.fill 48, 4, 3214868480
	.section	.AMDGPU.gpr_maximums,"",@progbits
	.set amdgpu.max_num_vgpr, 0
	.set amdgpu.max_num_agpr, 0
	.set amdgpu.max_num_sgpr, 0
	.text
	.type	__hip_cuid_10344a6bc4e3e69,@object ; @__hip_cuid_10344a6bc4e3e69
	.section	.bss,"aw",@nobits
	.globl	__hip_cuid_10344a6bc4e3e69
__hip_cuid_10344a6bc4e3e69:
	.byte	0                               ; 0x0
	.size	__hip_cuid_10344a6bc4e3e69, 1

	.ident	"AMD clang version 22.0.0git (https://github.com/RadeonOpenCompute/llvm-project roc-7.2.4 26084 f58b06dce1f9c15707c5f808fd002e18c2accf7e)"
	.section	".note.GNU-stack","",@progbits
	.addrsig
	.addrsig_sym __hip_cuid_10344a6bc4e3e69
	.amdgpu_metadata
---
amdhsa.kernels:
  - .args:
      - .offset:         0
        .size:           4
        .value_kind:     by_value
      - .address_space:  global
        .offset:         8
        .size:           8
        .value_kind:     global_buffer
      - .address_space:  global
        .offset:         16
        .size:           8
        .value_kind:     global_buffer
      - .address_space:  global
        .offset:         24
        .size:           8
        .value_kind:     global_buffer
      - .offset:         32
        .size:           4
        .value_kind:     hidden_block_count_x
      - .offset:         36
        .size:           4
        .value_kind:     hidden_block_count_y
      - .offset:         40
        .size:           4
        .value_kind:     hidden_block_count_z
      - .offset:         44
        .size:           2
        .value_kind:     hidden_group_size_x
      - .offset:         46
        .size:           2
        .value_kind:     hidden_group_size_y
      - .offset:         48
        .size:           2
        .value_kind:     hidden_group_size_z
      - .offset:         50
        .size:           2
        .value_kind:     hidden_remainder_x
      - .offset:         52
        .size:           2
        .value_kind:     hidden_remainder_y
      - .offset:         54
        .size:           2
        .value_kind:     hidden_remainder_z
      - .offset:         72
        .size:           8
        .value_kind:     hidden_global_offset_x
      - .offset:         80
        .size:           8
        .value_kind:     hidden_global_offset_y
      - .offset:         88
        .size:           8
        .value_kind:     hidden_global_offset_z
      - .offset:         96
        .size:           2
        .value_kind:     hidden_grid_dims
    .group_segment_fixed_size: 0
    .kernarg_segment_align: 8
    .kernarg_segment_size: 288
    .language:       OpenCL C
    .language_version:
      - 2
      - 0
    .max_flat_workgroup_size: 1024
    .name:           _Z9compute_fiPKfS0_Pf
    .private_segment_fixed_size: 0
    .sgpr_count:     14
    .sgpr_spill_count: 0
    .symbol:         _Z9compute_fiPKfS0_Pf.kd
    .uniform_work_group_size: 1
    .uses_dynamic_stack: false
    .vgpr_count:     13
    .vgpr_spill_count: 0
    .wavefront_size: 32
    .workgroup_processor_mode: 1
  - .args:
      - .offset:         0
        .size:           4
        .value_kind:     by_value
      - .address_space:  global
        .offset:         8
        .size:           8
        .value_kind:     global_buffer
      - .address_space:  global
        .offset:         16
        .size:           8
        .value_kind:     global_buffer
      - .address_space:  global
        .offset:         24
        .size:           8
        .value_kind:     global_buffer
      - .offset:         32
        .size:           4
        .value_kind:     hidden_block_count_x
      - .offset:         36
        .size:           4
        .value_kind:     hidden_block_count_y
      - .offset:         40
        .size:           4
        .value_kind:     hidden_block_count_z
      - .offset:         44
        .size:           2
        .value_kind:     hidden_group_size_x
      - .offset:         46
        .size:           2
        .value_kind:     hidden_group_size_y
      - .offset:         48
        .size:           2
        .value_kind:     hidden_group_size_z
      - .offset:         50
        .size:           2
        .value_kind:     hidden_remainder_x
      - .offset:         52
        .size:           2
        .value_kind:     hidden_remainder_y
      - .offset:         54
        .size:           2
        .value_kind:     hidden_remainder_z
      - .offset:         72
        .size:           8
        .value_kind:     hidden_global_offset_x
      - .offset:         80
        .size:           8
        .value_kind:     hidden_global_offset_y
      - .offset:         88
        .size:           8
        .value_kind:     hidden_global_offset_z
      - .offset:         96
        .size:           2
        .value_kind:     hidden_grid_dims
    .group_segment_fixed_size: 0
    .kernarg_segment_align: 8
    .kernarg_segment_size: 288
    .language:       OpenCL C
    .language_version:
      - 2
      - 0
    .max_flat_workgroup_size: 1024
    .name:           _Z9compute_siPKfS0_Ps
    .private_segment_fixed_size: 0
    .sgpr_count:     14
    .sgpr_spill_count: 0
    .symbol:         _Z9compute_siPKfS0_Ps.kd
    .uniform_work_group_size: 1
    .uses_dynamic_stack: false
    .vgpr_count:     11
    .vgpr_spill_count: 0
    .wavefront_size: 32
    .workgroup_processor_mode: 1
  - .args:
      - .offset:         0
        .size:           4
        .value_kind:     by_value
      - .address_space:  global
        .offset:         8
        .size:           8
        .value_kind:     global_buffer
      - .address_space:  global
        .offset:         16
        .size:           8
        .value_kind:     global_buffer
      - .address_space:  global
        .offset:         24
        .size:           8
        .value_kind:     global_buffer
      - .offset:         32
        .size:           4
        .value_kind:     hidden_block_count_x
      - .offset:         36
        .size:           4
        .value_kind:     hidden_block_count_y
      - .offset:         40
        .size:           4
        .value_kind:     hidden_block_count_z
      - .offset:         44
        .size:           2
        .value_kind:     hidden_group_size_x
      - .offset:         46
        .size:           2
        .value_kind:     hidden_group_size_y
      - .offset:         48
        .size:           2
        .value_kind:     hidden_group_size_z
      - .offset:         50
        .size:           2
        .value_kind:     hidden_remainder_x
      - .offset:         52
        .size:           2
        .value_kind:     hidden_remainder_y
      - .offset:         54
        .size:           2
        .value_kind:     hidden_remainder_z
      - .offset:         72
        .size:           8
        .value_kind:     hidden_global_offset_x
      - .offset:         80
        .size:           8
        .value_kind:     hidden_global_offset_y
      - .offset:         88
        .size:           8
        .value_kind:     hidden_global_offset_z
      - .offset:         96
        .size:           2
        .value_kind:     hidden_grid_dims
    .group_segment_fixed_size: 0
    .kernarg_segment_align: 8
    .kernarg_segment_size: 288
    .language:       OpenCL C
    .language_version:
      - 2
      - 0
    .max_flat_workgroup_size: 1024
    .name:           _Z9compute_iiPKfS0_Pi
    .private_segment_fixed_size: 0
    .sgpr_count:     14
    .sgpr_spill_count: 0
    .symbol:         _Z9compute_iiPKfS0_Pi.kd
    .uniform_work_group_size: 1
    .uses_dynamic_stack: false
    .vgpr_count:     13
    .vgpr_spill_count: 0
    .wavefront_size: 32
    .workgroup_processor_mode: 1
amdhsa.target:   amdgcn-amd-amdhsa--gfx1030
amdhsa.version:
  - 1
  - 2
...

	.end_amdgpu_metadata
